;; amdgpu-corpus repo=ROCm/rocFFT kind=compiled arch=gfx950 opt=O3
	.text
	.amdgcn_target "amdgcn-amd-amdhsa--gfx950"
	.amdhsa_code_object_version 6
	.protected	fft_rtc_fwd_len540_factors_3_10_6_3_wgs_216_tpt_54_halfLds_sp_ip_CI_unitstride_sbrr_C2R_dirReg ; -- Begin function fft_rtc_fwd_len540_factors_3_10_6_3_wgs_216_tpt_54_halfLds_sp_ip_CI_unitstride_sbrr_C2R_dirReg
	.globl	fft_rtc_fwd_len540_factors_3_10_6_3_wgs_216_tpt_54_halfLds_sp_ip_CI_unitstride_sbrr_C2R_dirReg
	.p2align	8
	.type	fft_rtc_fwd_len540_factors_3_10_6_3_wgs_216_tpt_54_halfLds_sp_ip_CI_unitstride_sbrr_C2R_dirReg,@function
fft_rtc_fwd_len540_factors_3_10_6_3_wgs_216_tpt_54_halfLds_sp_ip_CI_unitstride_sbrr_C2R_dirReg: ; @fft_rtc_fwd_len540_factors_3_10_6_3_wgs_216_tpt_54_halfLds_sp_ip_CI_unitstride_sbrr_C2R_dirReg
; %bb.0:
	s_load_dwordx2 s[4:5], s[0:1], 0x50
	s_load_dwordx4 s[8:11], s[0:1], 0x0
	s_load_dwordx2 s[6:7], s[0:1], 0x18
	v_mul_u32_u24_e32 v1, 0x4be, v0
	v_lshrrev_b32_e32 v1, 16, v1
	v_lshl_add_u32 v6, s2, 2, v1
	v_mov_b32_e32 v4, 0
	s_waitcnt lgkmcnt(0)
	v_cmp_lt_u64_e64 s[2:3], s[10:11], 2
	v_mov_b32_e32 v7, v4
	s_and_b64 vcc, exec, s[2:3]
	v_mov_b64_e32 v[2:3], 0
	s_cbranch_vccnz .LBB0_8
; %bb.1:
	s_load_dwordx2 s[2:3], s[0:1], 0x10
	s_add_u32 s12, s6, 8
	s_addc_u32 s13, s7, 0
	s_mov_b64 s[14:15], 1
	v_mov_b64_e32 v[2:3], 0
	s_waitcnt lgkmcnt(0)
	s_add_u32 s16, s2, 8
	s_addc_u32 s17, s3, 0
.LBB0_2:                                ; =>This Inner Loop Header: Depth=1
	s_load_dwordx2 s[18:19], s[16:17], 0x0
                                        ; implicit-def: $vgpr8_vgpr9
	s_waitcnt lgkmcnt(0)
	v_or_b32_e32 v5, s19, v7
	v_cmp_ne_u64_e32 vcc, 0, v[4:5]
	s_and_saveexec_b64 s[2:3], vcc
	s_xor_b64 s[20:21], exec, s[2:3]
	s_cbranch_execz .LBB0_4
; %bb.3:                                ;   in Loop: Header=BB0_2 Depth=1
	v_cvt_f32_u32_e32 v5, s18
	v_cvt_f32_u32_e32 v8, s19
	s_sub_u32 s2, 0, s18
	s_subb_u32 s3, 0, s19
	v_fmac_f32_e32 v5, 0x4f800000, v8
	v_rcp_f32_e32 v5, v5
	s_nop 0
	v_mul_f32_e32 v5, 0x5f7ffffc, v5
	v_mul_f32_e32 v8, 0x2f800000, v5
	v_trunc_f32_e32 v8, v8
	v_fmac_f32_e32 v5, 0xcf800000, v8
	v_cvt_u32_f32_e32 v12, v8
	v_cvt_u32_f32_e32 v5, v5
	v_mul_lo_u32 v8, s2, v12
	v_mul_hi_u32 v10, s2, v5
	v_mul_lo_u32 v9, s3, v5
	v_add_u32_e32 v10, v10, v8
	v_mul_lo_u32 v13, s2, v5
	v_add_u32_e32 v14, v10, v9
	v_mul_hi_u32 v8, v5, v13
	v_mul_hi_u32 v11, v5, v14
	v_mul_lo_u32 v10, v5, v14
	v_mov_b32_e32 v9, v4
	v_lshl_add_u64 v[8:9], v[8:9], 0, v[10:11]
	v_mul_hi_u32 v11, v12, v13
	v_mul_lo_u32 v13, v12, v13
	v_add_co_u32_e32 v8, vcc, v8, v13
	v_mul_hi_u32 v10, v12, v14
	s_nop 0
	v_addc_co_u32_e32 v8, vcc, v9, v11, vcc
	v_mov_b32_e32 v9, v4
	s_nop 0
	v_addc_co_u32_e32 v11, vcc, 0, v10, vcc
	v_mul_lo_u32 v10, v12, v14
	v_lshl_add_u64 v[8:9], v[8:9], 0, v[10:11]
	v_add_co_u32_e32 v5, vcc, v5, v8
	v_mul_lo_u32 v10, s2, v5
	s_nop 0
	v_addc_co_u32_e32 v12, vcc, v12, v9, vcc
	v_mul_lo_u32 v8, s2, v12
	v_mul_hi_u32 v9, s2, v5
	v_add_u32_e32 v8, v9, v8
	v_mul_lo_u32 v9, s3, v5
	v_add_u32_e32 v13, v8, v9
	v_mul_hi_u32 v15, v12, v10
	v_mul_lo_u32 v16, v12, v10
	v_mul_hi_u32 v9, v5, v13
	v_mul_lo_u32 v8, v5, v13
	v_mul_hi_u32 v10, v5, v10
	v_mov_b32_e32 v11, v4
	v_lshl_add_u64 v[8:9], v[10:11], 0, v[8:9]
	v_add_co_u32_e32 v8, vcc, v8, v16
	v_mul_hi_u32 v14, v12, v13
	s_nop 0
	v_addc_co_u32_e32 v8, vcc, v9, v15, vcc
	v_mul_lo_u32 v10, v12, v13
	s_nop 0
	v_addc_co_u32_e32 v11, vcc, 0, v14, vcc
	v_mov_b32_e32 v9, v4
	v_lshl_add_u64 v[8:9], v[8:9], 0, v[10:11]
	v_add_co_u32_e32 v5, vcc, v5, v8
	v_mul_hi_u32 v10, v6, v5
	s_nop 0
	v_addc_co_u32_e32 v12, vcc, v12, v9, vcc
	v_mad_u64_u32 v[8:9], s[2:3], v6, v12, 0
	v_mov_b32_e32 v11, v4
	v_lshl_add_u64 v[8:9], v[10:11], 0, v[8:9]
	v_mad_u64_u32 v[10:11], s[2:3], v7, v12, 0
	v_mad_u64_u32 v[12:13], s[2:3], v7, v5, 0
	v_add_co_u32_e32 v5, vcc, v8, v12
	s_nop 1
	v_addc_co_u32_e32 v8, vcc, v9, v13, vcc
	v_mov_b32_e32 v9, v4
	s_nop 0
	v_addc_co_u32_e32 v11, vcc, 0, v11, vcc
	v_lshl_add_u64 v[8:9], v[8:9], 0, v[10:11]
	v_mul_lo_u32 v5, s19, v8
	v_mul_lo_u32 v12, s18, v9
	v_mad_u64_u32 v[10:11], s[2:3], s18, v8, 0
	v_add3_u32 v5, v11, v12, v5
	v_sub_u32_e32 v11, v7, v5
	v_mov_b32_e32 v12, s19
	v_sub_co_u32_e32 v14, vcc, v6, v10
	s_nop 1
	v_subb_co_u32_e64 v10, s[2:3], v11, v12, vcc
	v_subrev_co_u32_e64 v11, s[2:3], s18, v14
	v_subb_co_u32_e32 v5, vcc, v7, v5, vcc
	s_nop 0
	v_subbrev_co_u32_e64 v10, s[2:3], 0, v10, s[2:3]
	v_cmp_le_u32_e64 s[2:3], s19, v10
	v_cmp_le_u32_e32 vcc, s19, v5
	s_nop 0
	v_cndmask_b32_e64 v12, 0, -1, s[2:3]
	v_cmp_le_u32_e64 s[2:3], s18, v11
	s_nop 1
	v_cndmask_b32_e64 v11, 0, -1, s[2:3]
	v_cmp_eq_u32_e64 s[2:3], s19, v10
	s_nop 1
	v_cndmask_b32_e64 v15, v12, v11, s[2:3]
	v_lshl_add_u64 v[10:11], v[8:9], 0, 2
	v_lshl_add_u64 v[12:13], v[8:9], 0, 1
	v_cmp_ne_u32_e64 s[2:3], 0, v15
	s_nop 1
	v_cndmask_b32_e64 v11, v13, v11, s[2:3]
	v_cndmask_b32_e64 v13, 0, -1, vcc
	v_cmp_le_u32_e32 vcc, s18, v14
	s_nop 1
	v_cndmask_b32_e64 v14, 0, -1, vcc
	v_cmp_eq_u32_e32 vcc, s19, v5
	s_nop 1
	v_cndmask_b32_e32 v5, v13, v14, vcc
	v_cmp_ne_u32_e32 vcc, 0, v5
	v_cndmask_b32_e64 v5, v12, v10, s[2:3]
	s_nop 0
	v_cndmask_b32_e32 v9, v9, v11, vcc
	v_cndmask_b32_e32 v8, v8, v5, vcc
.LBB0_4:                                ;   in Loop: Header=BB0_2 Depth=1
	s_andn2_saveexec_b64 s[2:3], s[20:21]
	s_cbranch_execz .LBB0_6
; %bb.5:                                ;   in Loop: Header=BB0_2 Depth=1
	v_cvt_f32_u32_e32 v5, s18
	s_sub_i32 s20, 0, s18
	v_rcp_iflag_f32_e32 v5, v5
	s_nop 0
	v_mul_f32_e32 v5, 0x4f7ffffe, v5
	v_cvt_u32_f32_e32 v5, v5
	v_mul_lo_u32 v8, s20, v5
	v_mul_hi_u32 v8, v5, v8
	v_add_u32_e32 v5, v5, v8
	v_mul_hi_u32 v5, v6, v5
	v_mul_lo_u32 v8, v5, s18
	v_sub_u32_e32 v8, v6, v8
	v_add_u32_e32 v9, 1, v5
	v_subrev_u32_e32 v10, s18, v8
	v_cmp_le_u32_e32 vcc, s18, v8
	s_nop 1
	v_cndmask_b32_e32 v8, v8, v10, vcc
	v_cndmask_b32_e32 v5, v5, v9, vcc
	v_add_u32_e32 v9, 1, v5
	v_cmp_le_u32_e32 vcc, s18, v8
	s_nop 1
	v_cndmask_b32_e32 v8, v5, v9, vcc
	v_mov_b32_e32 v9, v4
.LBB0_6:                                ;   in Loop: Header=BB0_2 Depth=1
	s_or_b64 exec, exec, s[2:3]
	v_mad_u64_u32 v[10:11], s[2:3], v8, s18, 0
	s_load_dwordx2 s[2:3], s[12:13], 0x0
	v_mul_lo_u32 v5, v9, s18
	v_mul_lo_u32 v12, v8, s19
	v_add3_u32 v5, v11, v12, v5
	v_sub_co_u32_e32 v6, vcc, v6, v10
	s_add_u32 s14, s14, 1
	s_nop 0
	v_subb_co_u32_e32 v5, vcc, v7, v5, vcc
	s_addc_u32 s15, s15, 0
	s_waitcnt lgkmcnt(0)
	v_mul_lo_u32 v5, s2, v5
	v_mul_lo_u32 v7, s3, v6
	v_mad_u64_u32 v[2:3], s[2:3], s2, v6, v[2:3]
	s_add_u32 s12, s12, 8
	v_add3_u32 v3, v7, v3, v5
	s_addc_u32 s13, s13, 0
	v_mov_b64_e32 v[6:7], s[10:11]
	s_add_u32 s16, s16, 8
	v_cmp_ge_u64_e32 vcc, s[14:15], v[6:7]
	s_addc_u32 s17, s17, 0
	s_cbranch_vccnz .LBB0_9
; %bb.7:                                ;   in Loop: Header=BB0_2 Depth=1
	v_mov_b64_e32 v[6:7], v[8:9]
	s_branch .LBB0_2
.LBB0_8:
	v_mov_b64_e32 v[8:9], v[6:7]
.LBB0_9:
	s_lshl_b64 s[2:3], s[10:11], 3
	s_add_u32 s2, s6, s2
	s_addc_u32 s3, s7, s3
	s_load_dwordx2 s[6:7], s[2:3], 0x0
	s_load_dwordx2 s[10:11], s[0:1], 0x20
	v_and_b32_e32 v1, 3, v1
	s_mov_b32 s2, 0x4bda130
	v_mul_u32_u24_e32 v33, 0x21d, v1
	s_waitcnt lgkmcnt(0)
	v_mul_lo_u32 v4, s6, v9
	v_mul_lo_u32 v5, s7, v8
	v_mad_u64_u32 v[2:3], s[0:1], s6, v8, v[2:3]
	v_mul_hi_u32 v1, v0, s2
	v_add3_u32 v3, v5, v3, v4
	v_mul_u32_u24_e32 v1, 54, v1
	v_cmp_gt_u64_e64 s[0:1], s[10:11], v[8:9]
	v_sub_u32_e32 v22, v0, v1
	v_lshl_add_u64 v[20:21], v[2:3], 3, s[4:5]
	v_lshlrev_b32_e32 v34, 3, v33
	s_and_saveexec_b64 s[2:3], s[0:1]
	s_cbranch_execz .LBB0_13
; %bb.10:
	v_mov_b32_e32 v23, 0
	v_lshl_add_u64 v[0:1], v[22:23], 3, v[20:21]
	global_load_dwordx2 v[2:3], v[0:1], off
	global_load_dwordx2 v[4:5], v[0:1], off offset:432
	global_load_dwordx2 v[6:7], v[0:1], off offset:864
	;; [unrolled: 1-line block ×9, first 2 shown]
	v_lshlrev_b32_e32 v0, 3, v22
	v_add3_u32 v0, 0, v34, v0
	v_cmp_eq_u32_e32 vcc, 53, v22
	v_add_u32_e32 v1, 0x400, v0
	v_add_u32_e32 v23, 0x800, v0
	s_waitcnt vmcnt(8)
	ds_write2_b64 v0, v[2:3], v[4:5] offset1:54
	s_waitcnt vmcnt(6)
	ds_write2_b64 v0, v[6:7], v[8:9] offset0:108 offset1:162
	s_waitcnt vmcnt(4)
	ds_write2_b64 v1, v[10:11], v[12:13] offset0:88 offset1:142
	;; [unrolled: 2-line block ×4, first 2 shown]
	s_and_saveexec_b64 s[4:5], vcc
	s_cbranch_execz .LBB0_12
; %bb.11:
	v_add_co_u32_e32 v2, vcc, 0x1000, v20
	v_mov_b32_e32 v22, 53
	s_nop 0
	v_addc_co_u32_e32 v3, vcc, 0, v21, vcc
	global_load_dwordx2 v[2:3], v[2:3], off offset:224
	s_waitcnt vmcnt(0)
	ds_write_b64 v0, v[2:3] offset:3896
.LBB0_12:
	s_or_b64 exec, exec, s[4:5]
.LBB0_13:
	s_or_b64 exec, exec, s[2:3]
	v_lshl_add_u32 v31, v33, 3, 0
	v_lshlrev_b32_e32 v0, 3, v22
	v_add_u32_e32 v35, v31, v0
	s_waitcnt lgkmcnt(0)
	s_barrier
	v_sub_u32_e32 v4, v31, v0
	ds_read_b32 v1, v35
	ds_read_b32 v2, v4 offset:4320
	s_add_u32 s2, s8, 0x10c8
	s_addc_u32 s3, s9, 0
	v_cmp_ne_u32_e32 vcc, 0, v22
	s_waitcnt lgkmcnt(0)
	v_add_f32_e32 v0, v2, v1
	v_sub_f32_e32 v1, v1, v2
                                        ; implicit-def: $vgpr2_vgpr3
	s_and_saveexec_b64 s[4:5], vcc
	s_xor_b64 s[4:5], exec, s[4:5]
	s_cbranch_execz .LBB0_15
; %bb.14:
	v_mov_b32_e32 v23, 0
	v_lshl_add_u64 v[2:3], v[22:23], 3, s[2:3]
	global_load_dwordx2 v[2:3], v[2:3], off
	ds_read_b32 v5, v4 offset:4324
	ds_read_b32 v9, v35 offset:4
	v_mov_b32_e32 v8, v1
	v_mov_b32_e32 v7, v1
	s_waitcnt lgkmcnt(0)
	v_add_f32_e32 v6, v5, v9
	v_sub_f32_e32 v5, v9, v5
	v_mov_b32_e32 v9, v6
	v_mov_b32_e32 v1, v5
	s_waitcnt vmcnt(0)
	v_pk_mul_f32 v[10:11], v[8:9], v[2:3] op_sel:[0,1]
	v_pk_fma_f32 v[8:9], v[8:9], v[2:3], v[0:1] op_sel:[0,1,0]
	v_mov_b32_e32 v1, v11
	v_mov_b32_e32 v11, v5
	v_pk_fma_f32 v[12:13], v[2:3], v[6:7], v[8:9] neg_lo:[1,0,0] neg_hi:[1,0,0]
	v_pk_fma_f32 v[8:9], v[2:3], v[6:7], v[8:9] op_sel_hi:[0,1,1]
	v_pk_add_f32 v[0:1], v[0:1], v[10:11] neg_lo:[0,1] neg_hi:[0,1]
	v_mov_b32_e32 v13, v9
	v_pk_fma_f32 v[0:1], v[2:3], v[6:7], v[0:1] op_sel_hi:[0,1,1]
	ds_write_b64 v35, v[12:13]
	ds_write_b64 v4, v[0:1] offset:4320
	v_mov_b64_e32 v[2:3], v[22:23]
                                        ; implicit-def: $vgpr0
.LBB0_15:
	s_andn2_saveexec_b64 s[4:5], s[4:5]
	s_cbranch_execz .LBB0_17
; %bb.16:
	ds_write_b64 v35, v[0:1]
	ds_read_b64 v[0:1], v31 offset:2160
	s_mov_b32 s6, 2.0
	s_mov_b32 s7, -2.0
	v_mov_b64_e32 v[2:3], 0
	s_waitcnt lgkmcnt(0)
	v_pk_mul_f32 v[0:1], v[0:1], s[6:7]
	ds_write_b64 v31, v[0:1] offset:2160
.LBB0_17:
	s_or_b64 exec, exec, s[4:5]
	v_lshl_add_u64 v[0:1], v[2:3], 3, s[2:3]
	global_load_dwordx2 v[2:3], v[0:1], off offset:432
	global_load_dwordx2 v[6:7], v[0:1], off offset:864
	;; [unrolled: 1-line block ×4, first 2 shown]
	ds_read_b64 v[0:1], v4 offset:3888
	ds_read_b64 v[10:11], v35 offset:432
	v_lshl_add_u32 v5, v22, 3, 0
	v_add_u32_e32 v23, v5, v34
	v_add_u32_e32 v24, 0x400, v23
	;; [unrolled: 1-line block ×3, first 2 shown]
	s_waitcnt lgkmcnt(0)
	v_pk_add_f32 v[12:13], v[10:11], v[0:1]
	v_pk_add_f32 v[0:1], v[10:11], v[0:1] neg_lo:[0,1] neg_hi:[0,1]
	v_mov_b32_e32 v10, v13
	v_mov_b32_e32 v11, v0
	;; [unrolled: 1-line block ×3, first 2 shown]
	s_mov_b32 s2, 0x3f5db3d7
	v_cmp_gt_u32_e32 vcc, 18, v22
	s_waitcnt vmcnt(3)
	v_pk_mul_f32 v[16:17], v[10:11], v[2:3] op_sel:[0,1]
	s_nop 0
	v_pk_add_f32 v[18:19], v[12:13], v[16:17] op_sel:[0,1] op_sel_hi:[1,0]
	v_mov_b32_e32 v13, v16
	v_mov_b32_e32 v0, v17
	v_pk_fma_f32 v[16:17], v[2:3], v[10:11], v[18:19] neg_lo:[1,0,0] neg_hi:[1,0,0]
	v_pk_fma_f32 v[18:19], v[2:3], v[10:11], v[18:19] op_sel_hi:[0,1,1]
	v_pk_add_f32 v[0:1], v[12:13], v[0:1] neg_lo:[0,1] neg_hi:[0,1]
	v_mov_b32_e32 v17, v19
	v_pk_fma_f32 v[0:1], v[2:3], v[10:11], v[0:1] op_sel_hi:[0,1,1]
	ds_write_b64 v35, v[16:17] offset:432
	ds_write_b64 v4, v[0:1] offset:3888
	ds_read_b64 v[0:1], v4 offset:3456
	ds_read_b64 v[2:3], v35 offset:864
	s_waitcnt lgkmcnt(0)
	v_pk_add_f32 v[10:11], v[2:3], v[0:1]
	v_pk_add_f32 v[0:1], v[2:3], v[0:1] neg_lo:[0,1] neg_hi:[0,1]
	v_mov_b32_e32 v2, v11
	v_mov_b32_e32 v3, v0
	;; [unrolled: 1-line block ×3, first 2 shown]
	s_waitcnt vmcnt(2)
	v_pk_mul_f32 v[12:13], v[2:3], v[6:7] op_sel:[0,1]
	s_nop 0
	v_pk_add_f32 v[16:17], v[10:11], v[12:13] op_sel:[0,1] op_sel_hi:[1,0]
	v_mov_b32_e32 v11, v12
	v_mov_b32_e32 v0, v13
	v_pk_fma_f32 v[12:13], v[6:7], v[2:3], v[16:17] neg_lo:[1,0,0] neg_hi:[1,0,0]
	v_pk_fma_f32 v[16:17], v[6:7], v[2:3], v[16:17] op_sel_hi:[0,1,1]
	v_pk_add_f32 v[0:1], v[10:11], v[0:1] neg_lo:[0,1] neg_hi:[0,1]
	v_mov_b32_e32 v13, v17
	v_pk_fma_f32 v[0:1], v[6:7], v[2:3], v[0:1] op_sel_hi:[0,1,1]
	ds_write_b64 v35, v[12:13] offset:864
	ds_write_b64 v4, v[0:1] offset:3456
	ds_read_b64 v[0:1], v4 offset:3024
	ds_read_b64 v[2:3], v35 offset:1296
	v_lshlrev_b32_e32 v10, 4, v22
	v_add_u32_e32 v11, v5, v10
	s_waitcnt lgkmcnt(0)
	v_pk_add_f32 v[6:7], v[2:3], v[0:1]
	v_pk_add_f32 v[0:1], v[2:3], v[0:1] neg_lo:[0,1] neg_hi:[0,1]
	v_mov_b32_e32 v2, v7
	v_mov_b32_e32 v3, v0
	;; [unrolled: 1-line block ×3, first 2 shown]
	s_waitcnt vmcnt(1)
	v_pk_mul_f32 v[12:13], v[2:3], v[8:9] op_sel:[0,1]
	s_nop 0
	v_pk_add_f32 v[16:17], v[6:7], v[12:13] op_sel:[0,1] op_sel_hi:[1,0]
	v_mov_b32_e32 v7, v12
	v_mov_b32_e32 v0, v13
	v_pk_fma_f32 v[12:13], v[8:9], v[2:3], v[16:17] neg_lo:[1,0,0] neg_hi:[1,0,0]
	v_pk_fma_f32 v[16:17], v[8:9], v[2:3], v[16:17] op_sel_hi:[0,1,1]
	v_pk_add_f32 v[0:1], v[6:7], v[0:1] neg_lo:[0,1] neg_hi:[0,1]
	v_mov_b32_e32 v13, v17
	v_pk_fma_f32 v[0:1], v[8:9], v[2:3], v[0:1] op_sel_hi:[0,1,1]
	ds_write_b64 v35, v[12:13] offset:1296
	ds_write_b64 v4, v[0:1] offset:3024
	ds_read_b64 v[0:1], v4 offset:2592
	ds_read_b64 v[2:3], v35 offset:1728
	v_add_u32_e32 v13, v11, v34
	v_add_u32_e32 v12, 0xa20, v11
	;; [unrolled: 1-line block ×3, first 2 shown]
	s_waitcnt lgkmcnt(0)
	v_pk_add_f32 v[6:7], v[2:3], v[0:1]
	v_pk_add_f32 v[0:1], v[2:3], v[0:1] neg_lo:[0,1] neg_hi:[0,1]
	v_mov_b32_e32 v2, v7
	v_mov_b32_e32 v3, v0
	;; [unrolled: 1-line block ×3, first 2 shown]
	s_waitcnt vmcnt(0)
	v_pk_mul_f32 v[8:9], v[2:3], v[14:15] op_sel:[0,1]
	s_nop 0
	v_pk_add_f32 v[16:17], v[6:7], v[8:9] op_sel:[0,1] op_sel_hi:[1,0]
	v_mov_b32_e32 v7, v8
	v_mov_b32_e32 v0, v9
	v_pk_fma_f32 v[8:9], v[14:15], v[2:3], v[16:17] neg_lo:[1,0,0] neg_hi:[1,0,0]
	v_pk_fma_f32 v[16:17], v[14:15], v[2:3], v[16:17] op_sel_hi:[0,1,1]
	v_pk_add_f32 v[0:1], v[6:7], v[0:1] neg_lo:[0,1] neg_hi:[0,1]
	v_mov_b32_e32 v9, v17
	v_pk_fma_f32 v[0:1], v[14:15], v[2:3], v[0:1] op_sel_hi:[0,1,1]
	ds_write_b64 v35, v[8:9] offset:1728
	ds_write_b64 v4, v[0:1] offset:2592
	s_waitcnt lgkmcnt(0)
	s_barrier
	s_barrier
	ds_read2_b64 v[0:3], v23 offset0:162 offset1:180
	ds_read2_b64 v[4:7], v28 offset0:86 offset1:104
	ds_read_b64 v[8:9], v23 offset:4176
	ds_read_b64 v[14:15], v35
	ds_read2_b64 v[16:19], v23 offset0:54 offset1:108
	ds_read2_b64 v[24:27], v24 offset0:106 offset1:160
	;; [unrolled: 1-line block ×3, first 2 shown]
	s_waitcnt lgkmcnt(4)
	v_pk_add_f32 v[40:41], v[4:5], v[8:9]
	v_pk_add_f32 v[42:43], v[4:5], v[8:9] neg_lo:[0,1] neg_hi:[0,1]
	s_waitcnt lgkmcnt(3)
	v_pk_add_f32 v[44:45], v[14:15], v[2:3]
	v_pk_add_f32 v[46:47], v[2:3], v[6:7]
	v_pk_add_f32 v[2:3], v[2:3], v[6:7] neg_lo:[0,1] neg_hi:[0,1]
	s_waitcnt lgkmcnt(1)
	v_pk_add_f32 v[48:49], v[16:17], v[24:25]
	s_waitcnt lgkmcnt(0)
	v_pk_add_f32 v[50:51], v[24:25], v[36:37]
	v_pk_add_f32 v[24:25], v[24:25], v[36:37] neg_lo:[0,1] neg_hi:[0,1]
	v_pk_fma_f32 v[40:41], v[40:41], 0.5, v[0:1] op_sel_hi:[1,0,1] neg_lo:[1,0,0] neg_hi:[1,0,0]
	v_pk_mul_f32 v[42:43], v[42:43], s[2:3] op_sel_hi:[1,0]
	v_pk_add_f32 v[6:7], v[44:45], v[6:7]
	v_pk_fma_f32 v[14:15], v[46:47], 0.5, v[14:15] op_sel_hi:[1,0,1] neg_lo:[1,0,0] neg_hi:[1,0,0]
	v_pk_mul_f32 v[44:45], v[2:3], s[2:3] op_sel_hi:[1,0]
	v_pk_fma_f32 v[46:47], v[50:51], 0.5, v[16:17] op_sel_hi:[1,0,1] neg_lo:[1,0,0] neg_hi:[1,0,0]
	v_pk_mul_f32 v[24:25], v[24:25], s[2:3] op_sel_hi:[1,0]
	v_pk_add_f32 v[2:3], v[40:41], v[42:43] op_sel:[0,1] op_sel_hi:[1,0] neg_lo:[0,1] neg_hi:[0,1]
	v_pk_add_f32 v[16:17], v[42:43], v[40:41] op_sel:[1,0] op_sel_hi:[0,1]
	v_pk_add_f32 v[40:41], v[14:15], v[44:45] op_sel:[0,1] op_sel_hi:[1,0]
	v_pk_add_f32 v[14:15], v[14:15], v[44:45] op_sel:[0,1] op_sel_hi:[1,0] neg_lo:[0,1] neg_hi:[0,1]
	v_pk_add_f32 v[42:43], v[46:47], v[24:25] op_sel:[0,1] op_sel_hi:[1,0]
	v_pk_add_f32 v[24:25], v[46:47], v[24:25] op_sel:[0,1] op_sel_hi:[1,0] neg_lo:[0,1] neg_hi:[0,1]
	v_mov_b32_e32 v44, v40
	v_mov_b32_e32 v45, v15
	s_barrier
	v_pk_add_f32 v[36:37], v[48:49], v[36:37]
	v_mov_b32_e32 v15, v41
	ds_write2_b64 v13, v[6:7], v[44:45] offset1:1
	v_mov_b32_e32 v6, v42
	v_mov_b32_e32 v7, v25
	;; [unrolled: 1-line block ×3, first 2 shown]
	ds_write2_b64 v13, v[36:37], v[6:7] offset0:162 offset1:163
	ds_write2_b64 v13, v[14:15], v[24:25] offset0:2 offset1:164
	v_pk_add_f32 v[6:7], v[26:27], v[38:39]
	v_pk_add_f32 v[14:15], v[26:27], v[38:39] neg_lo:[0,1] neg_hi:[0,1]
	v_pk_fma_f32 v[6:7], v[6:7], 0.5, v[18:19] op_sel_hi:[1,0,1] neg_lo:[1,0,0] neg_hi:[1,0,0]
	v_pk_mul_f32 v[14:15], v[14:15], s[2:3] op_sel_hi:[1,0]
	v_pk_add_f32 v[52:53], v[18:19], v[26:27]
	v_pk_add_f32 v[18:19], v[6:7], v[14:15] op_sel:[0,1] op_sel_hi:[1,0]
	v_pk_add_f32 v[6:7], v[6:7], v[14:15] op_sel:[0,1] op_sel_hi:[1,0] neg_lo:[0,1] neg_hi:[0,1]
	v_pk_add_f32 v[48:49], v[52:53], v[38:39]
	v_mov_b32_e32 v14, v18
	v_mov_b32_e32 v15, v7
	;; [unrolled: 1-line block ×3, first 2 shown]
	ds_write2_b64 v29, v[48:49], v[14:15] offset1:1
	ds_write_b64 v29, v[6:7] offset:16
	s_and_saveexec_b64 s[2:3], vcc
	s_cbranch_execz .LBB0_19
; %bb.18:
	v_pk_add_f32 v[0:1], v[0:1], v[4:5]
	v_lshl_add_u32 v6, v33, 3, v12
	v_pk_add_f32 v[0:1], v[0:1], v[8:9]
	ds_write_b64 v6, v[0:1] offset:1296
	v_mov_b32_e32 v0, v16
	v_mov_b32_e32 v1, v3
	;; [unrolled: 1-line block ×4, first 2 shown]
	ds_write2_b64 v6, v[0:1], v[4:5] offset0:163 offset1:164
.LBB0_19:
	s_or_b64 exec, exec, s[2:3]
	s_movk_i32 s2, 0xab
	v_mul_lo_u16_sdwa v0, v22, s2 dst_sel:DWORD dst_unused:UNUSED_PAD src0_sel:BYTE_0 src1_sel:DWORD
	v_lshrrev_b16_e32 v29, 9, v0
	v_mul_lo_u16_e32 v0, 3, v29
	v_sub_u16_e32 v32, v22, v0
	v_mov_b32_e32 v0, 9
	v_mul_u32_u24_sdwa v0, v32, v0 dst_sel:DWORD dst_unused:UNUSED_PAD src0_sel:BYTE_0 src1_sel:DWORD
	v_lshlrev_b32_e32 v8, 3, v0
	s_waitcnt lgkmcnt(0)
	s_barrier
	global_load_dwordx4 v[4:7], v8, s[8:9]
	global_load_dwordx4 v[12:15], v8, s[8:9] offset:16
	global_load_dwordx4 v[24:27], v8, s[8:9] offset:32
	global_load_dwordx2 v[0:1], v8, s[8:9] offset:64
	global_load_dwordx4 v[38:41], v8, s[8:9] offset:48
	v_sub_u32_e32 v37, v11, v10
	v_add_u32_e32 v36, v37, v34
	v_add_u32_e32 v58, 0x800, v36
	ds_read2_b64 v[8:11], v58 offset0:14 offset1:68
	ds_read2_b64 v[42:45], v36 offset0:54 offset1:108
	;; [unrolled: 1-line block ×3, first 2 shown]
	ds_read_b64 v[18:19], v36 offset:3888
	s_mov_b32 s6, 0x3f737871
	s_waitcnt lgkmcnt(3)
	v_mov_b32_e32 v30, v11
	s_mov_b32 s4, 0x3f167918
	s_mov_b32 s2, 0x3e9e377a
	;; [unrolled: 1-line block ×4, first 2 shown]
	s_waitcnt vmcnt(4) lgkmcnt(2)
	v_pk_mul_f32 v[50:51], v[4:5], v[42:43] op_sel:[0,1]
	v_pk_mul_f32 v[52:53], v[6:7], v[44:45] op_sel:[0,1]
	v_pk_fma_f32 v[54:55], v[4:5], v[42:43], v[50:51] op_sel:[0,0,1] op_sel_hi:[1,1,0] neg_lo:[0,0,1] neg_hi:[0,0,1]
	v_pk_fma_f32 v[42:43], v[4:5], v[42:43], v[50:51] op_sel:[0,0,1] op_sel_hi:[1,0,0]
	s_waitcnt vmcnt(3) lgkmcnt(1)
	v_pk_mul_f32 v[4:5], v[12:13], v[46:47] op_sel:[0,1]
	v_pk_fma_f32 v[50:51], v[6:7], v[44:45], v[52:53] op_sel:[0,0,1] op_sel_hi:[1,1,0] neg_lo:[0,0,1] neg_hi:[0,0,1]
	v_pk_fma_f32 v[44:45], v[6:7], v[44:45], v[52:53] op_sel:[0,0,1] op_sel_hi:[1,0,0]
	v_pk_mul_f32 v[6:7], v[14:15], v[48:49] op_sel:[0,1]
	v_pk_fma_f32 v[52:53], v[12:13], v[46:47], v[4:5] op_sel:[0,0,1] op_sel_hi:[1,1,0] neg_lo:[0,0,1] neg_hi:[0,0,1]
	v_pk_fma_f32 v[12:13], v[12:13], v[46:47], v[4:5] op_sel:[0,0,1] op_sel_hi:[1,0,0]
	s_waitcnt vmcnt(2)
	v_pk_mul_f32 v[4:5], v[10:11], v[26:27]
	v_pk_fma_f32 v[46:47], v[14:15], v[48:49], v[6:7] op_sel:[0,0,1] op_sel_hi:[1,1,0] neg_lo:[0,0,1] neg_hi:[0,0,1]
	v_pk_fma_f32 v[14:15], v[14:15], v[48:49], v[6:7] op_sel:[0,0,1] op_sel_hi:[1,0,0]
	v_mov_b32_e32 v4, v27
	v_pk_mul_f32 v[6:7], v[24:25], v[8:9] op_sel:[0,1]
	v_mov_b32_e32 v12, v5
	v_pk_mul_f32 v[48:49], v[10:11], v[4:5]
	v_pk_fma_f32 v[56:57], v[24:25], v[8:9], v[6:7] op_sel:[0,0,1] op_sel_hi:[1,1,0] neg_lo:[0,0,1] neg_hi:[0,0,1]
	v_pk_fma_f32 v[8:9], v[24:25], v[8:9], v[6:7] op_sel:[0,0,1] op_sel_hi:[1,0,0]
	ds_read2_b64 v[4:7], v58 offset0:122 offset1:176
	s_waitcnt vmcnt(1)
	v_mov_b32_e32 v14, v1
	v_pk_fma_f32 v[10:11], v[10:11], v[26:27], v[12:13] neg_lo:[0,0,1] neg_hi:[0,0,1]
	v_pk_fma_f32 v[24:25], v[30:31], v[26:27], v[48:49]
	s_waitcnt lgkmcnt(1)
	v_mov_b32_e32 v8, v19
	v_pk_mul_f32 v[26:27], v[18:19], v[14:15]
	s_waitcnt lgkmcnt(0)
	v_mov_b32_e32 v12, v5
	v_pk_fma_f32 v[26:27], v[8:9], v[0:1], v[26:27]
	s_waitcnt vmcnt(0)
	v_mov_b32_e32 v8, v39
	v_pk_mul_f32 v[48:49], v[4:5], v[38:39]
	v_pk_mul_f32 v[4:5], v[4:5], v[8:9]
	;; [unrolled: 1-line block ×3, first 2 shown]
	v_pk_fma_f32 v[4:5], v[12:13], v[38:39], v[4:5]
	ds_read_b64 v[38:39], v35
	v_mov_b32_e32 v18, v48
	v_mov_b32_e32 v19, v0
	;; [unrolled: 1-line block ×4, first 2 shown]
	v_pk_add_f32 v[0:1], v[18:19], v[0:1] neg_lo:[0,1] neg_hi:[0,1]
	v_pk_mul_f32 v[18:19], v[6:7], v[8:9] op_sel_hi:[1,0]
	v_mov_b32_e32 v51, v45
	v_mov_b32_e32 v57, v9
	v_pk_fma_f32 v[8:9], v[6:7], v[40:41], v[18:19] op_sel:[0,0,1] op_sel_hi:[1,1,0] neg_lo:[0,0,1] neg_hi:[0,0,1]
	v_pk_fma_f32 v[6:7], v[6:7], v[40:41], v[18:19] op_sel:[0,0,1] op_sel_hi:[1,0,0]
	v_mov_b32_e32 v47, v15
	v_mov_b32_e32 v9, v7
	s_waitcnt lgkmcnt(0)
	v_pk_add_f32 v[6:7], v[38:39], v[50:51]
	v_mov_b32_e32 v11, v24
	v_pk_add_f32 v[6:7], v[6:7], v[46:47]
	v_mov_b32_e32 v55, v43
	v_mov_b32_e32 v53, v13
	v_pk_add_f32 v[12:13], v[50:51], v[46:47] neg_lo:[0,1] neg_hi:[0,1]
	v_pk_add_f32 v[18:19], v[8:9], v[10:11] neg_lo:[0,1] neg_hi:[0,1]
	;; [unrolled: 1-line block ×3, first 2 shown]
	v_pk_add_f32 v[42:43], v[50:51], v[8:9]
	v_pk_add_f32 v[6:7], v[6:7], v[10:11]
	v_mov_b32_e32 v14, v0
	v_mov_b32_e32 v15, v4
	;; [unrolled: 1-line block ×4, first 2 shown]
	v_pk_add_f32 v[4:5], v[46:47], v[50:51] neg_lo:[0,1] neg_hi:[0,1]
	v_pk_add_f32 v[26:27], v[50:51], v[8:9] neg_lo:[0,1] neg_hi:[0,1]
	v_pk_add_f32 v[12:13], v[12:13], v[18:19]
	v_pk_fma_f32 v[18:19], v[42:43], 0.5, v[38:39] op_sel_hi:[1,0,1] neg_lo:[1,0,0] neg_hi:[1,0,0]
	v_pk_mul_f32 v[42:43], v[40:41], s[6:7] op_sel_hi:[1,0]
	v_pk_add_f32 v[6:7], v[6:7], v[8:9]
	v_pk_add_f32 v[8:9], v[10:11], v[8:9] neg_lo:[0,1] neg_hi:[0,1]
	v_pk_mul_f32 v[44:45], v[26:27], s[4:5] op_sel_hi:[1,0]
	v_pk_add_f32 v[4:5], v[4:5], v[8:9]
	v_pk_add_f32 v[8:9], v[18:19], v[42:43] op_sel:[0,1] op_sel_hi:[1,0] neg_lo:[0,1] neg_hi:[0,1]
	v_pk_add_f32 v[18:19], v[18:19], v[42:43] op_sel:[0,1] op_sel_hi:[1,0]
	v_pk_add_f32 v[8:9], v[8:9], v[44:45] op_sel:[0,1] op_sel_hi:[1,0]
	v_pk_add_f32 v[18:19], v[18:19], v[44:45] op_sel:[0,1] op_sel_hi:[1,0] neg_lo:[0,1] neg_hi:[0,1]
	v_pk_add_f32 v[44:45], v[56:57], v[14:15] neg_lo:[0,1] neg_hi:[0,1]
	v_pk_add_f32 v[48:49], v[52:53], v[0:1]
	v_pk_add_f32 v[24:25], v[14:15], v[0:1] neg_lo:[0,1] neg_hi:[0,1]
	v_pk_add_f32 v[42:43], v[52:53], v[0:1] neg_lo:[0,1] neg_hi:[0,1]
	v_pk_fma_f32 v[48:49], v[48:49], 0.5, v[54:55] op_sel_hi:[1,0,1] neg_lo:[1,0,0] neg_hi:[1,0,0]
	v_pk_mul_f32 v[50:51], v[44:45], s[6:7] op_sel_hi:[1,0]
	v_pk_add_f32 v[58:59], v[56:57], v[52:53] neg_lo:[0,1] neg_hi:[0,1]
	v_pk_add_f32 v[10:11], v[46:47], v[10:11]
	v_pk_add_f32 v[24:25], v[58:59], v[24:25]
	v_pk_add_f32 v[58:59], v[48:49], v[50:51] op_sel:[0,1] op_sel_hi:[1,0] neg_lo:[0,1] neg_hi:[0,1]
	v_pk_add_f32 v[48:49], v[48:49], v[50:51] op_sel:[0,1] op_sel_hi:[1,0]
	v_pk_mul_f32 v[50:51], v[42:43], s[4:5] op_sel_hi:[1,0]
	v_pk_fma_f32 v[10:11], v[10:11], 0.5, v[38:39] op_sel_hi:[1,0,1] neg_lo:[1,0,0] neg_hi:[1,0,0]
	v_pk_add_f32 v[48:49], v[48:49], v[50:51] op_sel:[0,1] op_sel_hi:[1,0] neg_lo:[0,1] neg_hi:[0,1]
	v_pk_add_f32 v[50:51], v[58:59], v[50:51] op_sel:[0,1] op_sel_hi:[1,0]
	v_mov_b32_e32 v59, v49
	v_mov_b32_e32 v58, v50
	v_pk_fma_f32 v[58:59], v[24:25], s[2:3], v[58:59] op_sel_hi:[1,0,1]
	v_pk_add_f32 v[38:39], v[52:53], v[56:57] neg_lo:[0,1] neg_hi:[0,1]
	v_pk_mul_f32 v[60:61], v[58:59], s[6:7] op_sel_hi:[1,0]
	v_mov_b32_e32 v49, v51
	v_pk_fma_f32 v[62:63], v[58:59], s[2:3], v[60:61] op_sel:[0,0,1] op_sel_hi:[1,0,0]
	v_pk_fma_f32 v[58:59], v[58:59], s[2:3], v[60:61] op_sel:[0,0,1] op_sel_hi:[1,0,0] neg_lo:[0,0,1] neg_hi:[0,0,1]
	s_movk_i32 s3, 0xf0
	v_mov_b32_e32 v63, v59
	v_mov_b32_e32 v58, v8
	;; [unrolled: 1-line block ×4, first 2 shown]
	v_pk_add_f32 v[8:9], v[54:55], v[52:53]
	v_pk_mul_f32 v[44:45], v[44:45], s[4:5] op_sel_hi:[1,0]
	v_pk_add_f32 v[8:9], v[8:9], v[56:57]
	v_pk_fma_f32 v[24:25], v[24:25], s[2:3], v[48:49] op_sel_hi:[1,0,1]
	v_pk_add_f32 v[8:9], v[8:9], v[14:15]
	v_mov_b32_e32 v30, 3
	v_pk_add_f32 v[8:9], v[8:9], v[0:1]
	v_pk_add_f32 v[0:1], v[0:1], v[14:15] neg_lo:[0,1] neg_hi:[0,1]
	v_pk_add_f32 v[14:15], v[56:57], v[14:15]
	v_pk_add_f32 v[0:1], v[38:39], v[0:1]
	v_pk_fma_f32 v[14:15], v[14:15], 0.5, v[54:55] op_sel_hi:[1,0,1] neg_lo:[1,0,0] neg_hi:[1,0,0]
	v_pk_fma_f32 v[38:39], v[26:27], s[6:7], v[10:11] op_sel:[0,0,1] op_sel_hi:[1,0,0]
	v_pk_fma_f32 v[10:11], v[26:27], s[6:7], v[10:11] op_sel:[0,0,1] op_sel_hi:[1,0,0] neg_lo:[1,0,0] neg_hi:[1,0,0]
	v_pk_mul_f32 v[26:27], v[42:43], s[6:7] op_sel_hi:[1,0]
	v_pk_mul_f32 v[48:49], v[24:25], s[2:3] op_sel_hi:[1,0]
	v_pk_add_f32 v[42:43], v[14:15], v[26:27] op_sel:[0,1] op_sel_hi:[1,0]
	v_pk_add_f32 v[14:15], v[14:15], v[26:27] op_sel:[0,1] op_sel_hi:[1,0] neg_lo:[0,1] neg_hi:[0,1]
	v_pk_add_f32 v[42:43], v[44:45], v[42:43] op_sel:[1,0] op_sel_hi:[0,1]
	v_pk_add_f32 v[14:15], v[14:15], v[44:45] op_sel:[0,1] op_sel_hi:[1,0] neg_lo:[0,1] neg_hi:[0,1]
	v_mov_b32_e32 v27, v43
	v_mov_b32_e32 v26, v14
	v_lshlrev_b32_sdwa v30, v30, v32 dst_sel:DWORD dst_unused:UNUSED_PAD src0_sel:DWORD src1_sel:BYTE_0
	v_mad_u32_u24 v29, v29, s3, 0
	v_pk_fma_f32 v[58:59], v[4:5], s[2:3], v[58:59] op_sel_hi:[1,0,1]
	v_pk_fma_f32 v[4:5], v[4:5], s[2:3], v[18:19] op_sel_hi:[1,0,1]
	v_pk_fma_f32 v[48:49], v[24:25], s[10:11], v[48:49] op_sel:[0,0,1] op_sel_hi:[1,1,0] neg_lo:[0,0,1] neg_hi:[0,0,1]
	v_pk_fma_f32 v[26:27], v[0:1], s[2:3], v[26:27] op_sel_hi:[1,0,1]
	s_mov_b32 s10, 0x3f4f1bbd
	v_add3_u32 v29, v29, v30, v34
	v_pk_add_f32 v[50:51], v[58:59], v[62:63]
	v_pk_add_f32 v[24:25], v[4:5], v[48:49] op_sel:[0,1] op_sel_hi:[1,0]
	s_mov_b32 s6, 0xbf167918
	s_mov_b32 s7, s4
	v_pk_mul_f32 v[44:45], v[26:27], s[10:11] op_sel_hi:[1,0]
	v_mov_b32_e32 v43, v15
	s_barrier
	ds_write2_b64 v29, v[50:51], v[24:25] offset0:6 offset1:9
	v_pk_mul_f32 v[50:51], v[40:41], s[4:5] op_sel_hi:[1,0]
	v_pk_fma_f32 v[26:27], v[26:27], s[6:7], v[44:45] op_sel:[0,0,1] op_sel_hi:[1,1,0] neg_lo:[0,0,1] neg_hi:[0,0,1]
	v_mov_b32_e32 v44, v39
	v_mov_b32_e32 v45, v10
	v_pk_fma_f32 v[10:11], v[40:41], s[4:5], v[10:11] op_sel_hi:[1,0,1] neg_lo:[1,0,0] neg_hi:[1,0,0]
	v_pk_fma_f32 v[38:39], v[40:41], s[4:5], v[38:39] op_sel_hi:[1,0,1]
	v_pk_fma_f32 v[0:1], v[0:1], s[2:3], v[42:43] op_sel_hi:[1,0,1]
	v_pk_add_f32 v[46:47], v[44:45], v[50:51] op_sel:[0,1] op_sel_hi:[1,0]
	v_pk_add_f32 v[44:45], v[44:45], v[50:51] op_sel:[0,1] op_sel_hi:[1,0] neg_lo:[0,1] neg_hi:[0,1]
	v_mov_b32_e32 v39, v11
	v_pk_mul_f32 v[10:11], v[0:1], s[4:5] op_sel_hi:[1,0]
	v_pk_mul_f32 v[24:25], v[12:13], s[2:3] op_sel_hi:[1,0]
	v_mov_b32_e32 v47, v45
	v_pk_fma_f32 v[14:15], v[0:1], s[10:11], v[10:11] op_sel:[0,0,1] op_sel_hi:[1,0,0]
	v_pk_fma_f32 v[0:1], v[0:1], s[10:11], v[10:11] op_sel:[0,0,1] op_sel_hi:[1,0,0] neg_lo:[0,0,1] neg_hi:[0,0,1]
	v_pk_fma_f32 v[12:13], v[12:13], s[2:3], v[46:47] op_sel_hi:[1,0,1]
	v_pk_add_f32 v[38:39], v[24:25], v[38:39] op_sel:[1,0] op_sel_hi:[0,1]
	v_mov_b32_e32 v15, v1
	v_pk_add_f32 v[18:19], v[6:7], v[8:9]
	v_pk_add_f32 v[0:1], v[38:39], v[26:27]
	;; [unrolled: 1-line block ×3, first 2 shown]
	ds_write2_b64 v29, v[18:19], v[10:11] offset1:3
	v_mov_b32_e32 v10, v1
	v_mov_b32_e32 v11, v0
	v_pk_add_f32 v[0:1], v[6:7], v[8:9] neg_lo:[0,1] neg_hi:[0,1]
	ds_write2_b64 v29, v[10:11], v[0:1] offset0:12 offset1:15
	v_pk_add_f32 v[0:1], v[38:39], v[26:27] neg_lo:[0,1] neg_hi:[0,1]
	v_pk_add_f32 v[24:25], v[12:13], v[14:15] neg_lo:[0,1] neg_hi:[0,1]
	;; [unrolled: 1-line block ×3, first 2 shown]
	v_pk_add_f32 v[10:11], v[4:5], v[48:49] op_sel:[0,1] op_sel_hi:[1,0] neg_lo:[0,1] neg_hi:[0,1]
	v_mov_b32_e32 v4, v1
	v_mov_b32_e32 v5, v0
	ds_write2_b64 v29, v[24:25], v[8:9] offset0:18 offset1:21
	ds_write2_b64 v29, v[10:11], v[4:5] offset0:24 offset1:27
	s_waitcnt lgkmcnt(0)
	s_barrier
	ds_read2_b64 v[12:15], v23 offset0:90 offset1:180
	ds_read_b64 v[18:19], v35
	ds_read_b64 v[26:27], v36 offset:2160
	ds_read2_b64 v[4:7], v28 offset0:104 offset1:194
	v_cmp_gt_u32_e64 s[2:3], 36, v22
	v_cmp_lt_u32_e64 s[4:5], 35, v22
                                        ; implicit-def: $vgpr30
                                        ; implicit-def: $vgpr32
                                        ; implicit-def: $vgpr28
	s_and_saveexec_b64 s[6:7], s[4:5]
	s_xor_b64 s[4:5], exec, s[6:7]
; %bb.20:
	v_mov_b32_e32 v30, v9
	v_mov_b32_e32 v32, v11
	;; [unrolled: 1-line block ×3, first 2 shown]
; %bb.21:
	s_andn2_saveexec_b64 s[4:5], s[4:5]
	s_cbranch_execz .LBB0_23
; %bb.22:
	v_add_u32_e32 v0, 0x800, v23
	ds_read2_b64 v[0:3], v0 offset0:158 offset1:248
	ds_read_b64 v[24:25], v36 offset:432
	ds_read_b64 v[28:29], v36 offset:2592
	ds_read2_b64 v[8:11], v23 offset0:144 offset1:234
	s_waitcnt lgkmcnt(3)
	v_mov_b32_e32 v16, v0
	v_mov_b32_e32 v17, v3
	;; [unrolled: 1-line block ×3, first 2 shown]
	s_waitcnt lgkmcnt(1)
	v_mov_b32_e32 v0, v29
	s_waitcnt lgkmcnt(0)
	v_mov_b32_e32 v32, v11
	v_mov_b32_e32 v30, v9
.LBB0_23:
	s_or_b64 exec, exec, s[4:5]
	v_subrev_u32_e32 v1, 30, v22
	v_cmp_gt_u32_e64 s[4:5], 30, v22
	v_mov_b32_e32 v39, 0
	v_mov_b32_e32 v9, 5
	v_cndmask_b32_e64 v1, v1, v22, s[4:5]
	v_mul_i32_i24_e32 v38, 5, v1
	v_lshl_add_u64 v[56:57], v[38:39], 3, s[8:9]
	v_add_u32_e32 v38, 54, v22
	s_movk_i32 s4, 0x89
	v_mul_lo_u16_sdwa v11, v38, s4 dst_sel:DWORD dst_unused:UNUSED_PAD src0_sel:BYTE_0 src1_sel:DWORD
	v_lshrrev_b16_e32 v29, 12, v11
	v_mul_lo_u16_e32 v11, 30, v29
	global_load_dwordx4 v[40:43], v[56:57], off offset:216
	global_load_dwordx4 v[44:47], v[56:57], off offset:232
	v_sub_u16_e32 v39, v38, v11
	v_mul_u32_u24_sdwa v9, v39, v9 dst_sel:DWORD dst_unused:UNUSED_PAD src0_sel:BYTE_0 src1_sel:DWORD
	v_lshlrev_b32_e32 v9, 3, v9
	global_load_dwordx4 v[48:51], v9, s[8:9] offset:216
	global_load_dwordx4 v[52:55], v9, s[8:9] offset:232
	global_load_dwordx2 v[58:59], v9, s[8:9] offset:248
	global_load_dwordx2 v[60:61], v[56:57], off offset:248
	v_mov_b32_e32 v9, 0x5a0
	v_cmp_lt_u32_e64 s[4:5], 29, v22
	v_lshlrev_b32_e32 v1, 3, v1
	s_mov_b32 s6, 0x3f5db3d7
	v_cndmask_b32_e64 v9, 0, v9, s[4:5]
	v_add_u32_e32 v9, 0, v9
	v_add3_u32 v66, v9, v1, v34
	s_mov_b32 s7, 0xbf5db3d7
	s_movk_i32 s10, 0x5a0
	s_waitcnt lgkmcnt(0)
	s_barrier
	s_waitcnt vmcnt(5)
	v_pk_mul_f32 v[56:57], v[40:41], v[12:13] op_sel:[0,1]
	v_pk_mul_f32 v[62:63], v[42:43], v[14:15] op_sel:[0,1]
	v_pk_fma_f32 v[64:65], v[40:41], v[12:13], v[56:57] op_sel:[0,0,1] op_sel_hi:[1,1,0] neg_lo:[0,0,1] neg_hi:[0,0,1]
	v_pk_fma_f32 v[12:13], v[40:41], v[12:13], v[56:57] op_sel:[0,0,1] op_sel_hi:[1,0,0]
	v_pk_fma_f32 v[40:41], v[42:43], v[14:15], v[62:63] op_sel:[0,0,1] op_sel_hi:[1,1,0] neg_lo:[0,0,1] neg_hi:[0,0,1]
	v_pk_fma_f32 v[14:15], v[42:43], v[14:15], v[62:63] op_sel:[0,0,1] op_sel_hi:[1,0,0]
	s_waitcnt vmcnt(4)
	v_pk_mul_f32 v[42:43], v[44:45], v[26:27] op_sel:[0,1]
	v_pk_mul_f32 v[56:57], v[46:47], v[4:5] op_sel:[0,1]
	v_pk_fma_f32 v[62:63], v[44:45], v[26:27], v[42:43] op_sel:[0,0,1] op_sel_hi:[1,1,0] neg_lo:[0,0,1] neg_hi:[0,0,1]
	v_pk_fma_f32 v[26:27], v[44:45], v[26:27], v[42:43] op_sel:[0,0,1] op_sel_hi:[1,0,0]
	v_pk_fma_f32 v[42:43], v[46:47], v[4:5], v[56:57] op_sel:[0,0,1] op_sel_hi:[1,1,0] neg_lo:[0,0,1] neg_hi:[0,0,1]
	v_pk_fma_f32 v[4:5], v[46:47], v[4:5], v[56:57] op_sel:[0,0,1] op_sel_hi:[1,0,0]
	v_mov_b32_e32 v65, v13
	v_mov_b32_e32 v41, v15
	;; [unrolled: 1-line block ×4, first 2 shown]
	s_waitcnt vmcnt(3)
	v_pk_mul_f32 v[4:5], v[30:31], v[48:49] op_sel_hi:[0,1]
	v_pk_mul_f32 v[12:13], v[32:33], v[50:51] op_sel_hi:[0,1]
	s_waitcnt vmcnt(2)
	v_pk_mul_f32 v[0:1], v[0:1], v[52:53] op_sel_hi:[0,1]
	v_pk_mul_f32 v[14:15], v[2:3], v[54:55] op_sel:[1,0]
	s_waitcnt vmcnt(1)
	v_pk_mul_f32 v[26:27], v[16:17], v[58:59] op_sel:[1,0]
	v_pk_fma_f32 v[46:47], v[8:9], v[48:49], v[4:5] op_sel:[0,0,1] op_sel_hi:[1,1,0] neg_lo:[0,0,1] neg_hi:[0,0,1]
	v_pk_fma_f32 v[4:5], v[8:9], v[48:49], v[4:5] op_sel:[0,0,1] op_sel_hi:[0,1,0]
	v_pk_fma_f32 v[8:9], v[10:11], v[50:51], v[12:13] op_sel:[0,0,1] op_sel_hi:[1,1,0] neg_lo:[0,0,1] neg_hi:[0,0,1]
	v_pk_fma_f32 v[10:11], v[10:11], v[50:51], v[12:13] op_sel:[0,0,1] op_sel_hi:[0,1,0]
	;; [unrolled: 2-line block ×5, first 2 shown]
	v_mov_b32_e32 v47, v5
	v_mov_b32_e32 v9, v11
	;; [unrolled: 1-line block ×5, first 2 shown]
	v_pk_add_f32 v[0:1], v[24:25], v[8:9]
	v_pk_add_f32 v[2:3], v[46:47], v[12:13]
	;; [unrolled: 1-line block ×3, first 2 shown]
	v_pk_add_f32 v[14:15], v[8:9], v[48:49] neg_lo:[0,1] neg_hi:[0,1]
	v_pk_add_f32 v[50:51], v[12:13], v[16:17]
	v_pk_add_f32 v[52:53], v[12:13], v[16:17] neg_lo:[0,1] neg_hi:[0,1]
	v_pk_add_f32 v[4:5], v[0:1], v[48:49]
	v_pk_add_f32 v[8:9], v[2:3], v[16:17]
	v_pk_fma_f32 v[0:1], v[10:11], 0.5, v[24:25] op_sel_hi:[1,0,1] neg_lo:[1,0,0] neg_hi:[1,0,0]
	v_pk_mul_f32 v[2:3], v[14:15], s[6:7] op_sel_hi:[1,0]
	v_pk_fma_f32 v[10:11], v[50:51], 0.5, v[46:47] op_sel_hi:[1,0,1] neg_lo:[1,0,0] neg_hi:[1,0,0]
	s_waitcnt vmcnt(0)
	v_pk_mul_f32 v[44:45], v[60:61], v[6:7] op_sel:[0,1]
	v_pk_add_f32 v[12:13], v[2:3], v[0:1] op_sel:[1,0] op_sel_hi:[0,1]
	v_pk_add_f32 v[14:15], v[0:1], v[2:3] op_sel:[0,1] op_sel_hi:[1,0] neg_lo:[0,1] neg_hi:[0,1]
	v_pk_fma_f32 v[2:3], v[52:53], s[6:7], v[10:11] op_sel:[0,0,1] op_sel_hi:[1,0,0] neg_lo:[1,0,0] neg_hi:[1,0,0]
	v_pk_fma_f32 v[26:27], v[60:61], v[6:7], v[44:45] op_sel:[0,0,1] op_sel_hi:[1,1,0] neg_lo:[0,0,1] neg_hi:[0,0,1]
	v_pk_fma_f32 v[0:1], v[52:53], s[6:7], v[10:11] op_sel:[0,0,1] op_sel_hi:[1,0,0]
	v_mul_f32_e32 v7, 0x3f5db3d7, v2
	v_fmac_f32_e32 v7, 0.5, v1
	v_pk_fma_f32 v[44:45], v[60:61], v[6:7], v[44:45] op_sel:[0,0,1] op_sel_hi:[1,0,0]
	v_pk_add_f32 v[50:51], v[40:41], v[42:43]
	v_mov_b32_e32 v27, v45
	v_pk_add_f32 v[44:45], v[18:19], v[40:41]
	v_pk_add_f32 v[46:47], v[64:65], v[62:63]
	v_pk_fma_f32 v[18:19], v[50:51], 0.5, v[18:19] op_sel_hi:[1,0,1] neg_lo:[1,0,0] neg_hi:[1,0,0]
	v_pk_add_f32 v[50:51], v[62:63], v[26:27]
	v_pk_add_f32 v[46:47], v[46:47], v[26:27]
	v_pk_fma_f32 v[50:51], v[50:51], 0.5, v[64:65] op_sel_hi:[1,0,1] neg_lo:[1,0,0] neg_hi:[1,0,0]
	v_pk_add_f32 v[26:27], v[62:63], v[26:27] neg_lo:[0,1] neg_hi:[0,1]
	v_pk_add_f32 v[40:41], v[40:41], v[42:43] neg_lo:[0,1] neg_hi:[0,1]
	v_pk_fma_f32 v[52:53], v[26:27], s[6:7], v[50:51] op_sel:[0,0,1] op_sel_hi:[1,0,0]
	v_pk_fma_f32 v[26:27], v[26:27], s[6:7], v[50:51] op_sel:[0,0,1] op_sel_hi:[1,0,0] neg_lo:[1,0,0] neg_hi:[1,0,0]
	v_mov_b32_e32 v10, v14
	v_mov_b32_e32 v16, v0
	;; [unrolled: 1-line block ×3, first 2 shown]
	v_pk_mul_f32 v[40:41], v[40:41], s[6:7] op_sel_hi:[1,0]
	v_mov_b32_e32 v50, v52
	v_mov_b32_e32 v51, v27
	v_mul_f32_e32 v14, 0xbf5db3d7, v53
	v_mov_b32_e32 v11, v13
	v_mul_f32_e32 v13, 0xbf5db3d7, v1
	v_pk_mul_f32 v[0:1], v[16:17], 0.5 op_sel_hi:[1,0]
	v_pk_add_f32 v[44:45], v[44:45], v[42:43]
	v_pk_add_f32 v[42:43], v[40:41], v[18:19] op_sel:[1,0] op_sel_hi:[0,1]
	v_pk_add_f32 v[18:19], v[18:19], v[40:41] op_sel:[0,1] op_sel_hi:[1,0] neg_lo:[0,1] neg_hi:[0,1]
	v_mul_f32_e32 v6, 0x3f5db3d7, v26
	v_fmac_f32_e32 v14, 0.5, v26
	v_pk_mul_f32 v[26:27], v[50:51], 0.5 op_sel_hi:[1,0]
	v_fmac_f32_e32 v13, 0.5, v2
	v_pk_fma_f32 v[16:17], v[16:17], s[6:7], v[0:1] op_sel:[0,0,1] op_sel_hi:[1,1,0] neg_lo:[0,0,1] neg_hi:[0,0,1]
	v_mov_b32_e32 v40, v18
	v_mov_b32_e32 v41, v43
	v_fmac_f32_e32 v6, 0.5, v53
	v_pk_fma_f32 v[26:27], v[50:51], s[6:7], v[26:27] op_sel:[0,0,1] op_sel_hi:[1,1,0] neg_lo:[0,0,1] neg_hi:[0,0,1]
	v_pk_add_f32 v[24:25], v[4:5], v[8:9] neg_lo:[0,1] neg_hi:[0,1]
	v_sub_f32_e32 v0, v12, v7
	v_sub_f32_e32 v1, v15, v13
	v_pk_add_f32 v[2:3], v[10:11], v[16:17] neg_lo:[0,1] neg_hi:[0,1]
	v_pk_add_f32 v[48:49], v[44:45], v[46:47]
	v_add_f32_e32 v52, v42, v6
	v_add_f32_e32 v53, v19, v14
	v_pk_add_f32 v[50:51], v[40:41], v[26:27]
	v_sub_f32_e32 v18, v42, v6
	v_sub_f32_e32 v19, v19, v14
	v_pk_add_f32 v[42:43], v[44:45], v[46:47] neg_lo:[0,1] neg_hi:[0,1]
	v_pk_add_f32 v[26:27], v[40:41], v[26:27] neg_lo:[0,1] neg_hi:[0,1]
	ds_write2_b64 v66, v[48:49], v[52:53] offset1:30
	ds_write2_b64 v66, v[50:51], v[42:43] offset0:60 offset1:90
	ds_write2_b64 v66, v[18:19], v[26:27] offset0:120 offset1:150
	s_and_saveexec_b64 s[4:5], s[2:3]
	s_cbranch_execz .LBB0_25
; %bb.24:
	v_add_f32_e32 v12, v12, v7
	v_mov_b32_e32 v7, 3
	v_mad_u32_u24 v6, v29, s10, 0
	v_lshlrev_b32_sdwa v7, v7, v39 dst_sel:DWORD dst_unused:UNUSED_PAD src0_sel:DWORD src1_sel:BYTE_0
	v_add_f32_e32 v13, v15, v13
	v_add3_u32 v6, v6, v7, v34
	v_pk_add_f32 v[4:5], v[4:5], v[8:9]
	ds_write2_b64 v6, v[4:5], v[12:13] offset1:30
	v_pk_add_f32 v[4:5], v[10:11], v[16:17]
	ds_write2_b64 v6, v[4:5], v[24:25] offset0:60 offset1:90
	ds_write2_b64 v6, v[0:1], v[2:3] offset0:120 offset1:150
.LBB0_25:
	s_or_b64 exec, exec, s[4:5]
	v_add_u32_e32 v16, 0x800, v23
	s_waitcnt lgkmcnt(0)
	s_barrier
	ds_read_b64 v[28:29], v35
	ds_read2_b64 v[8:11], v23 offset0:180 offset1:234
	ds_read2_b64 v[12:15], v16 offset0:32 offset1:104
	ds_read2_b64 v[4:7], v36 offset0:54 offset1:108
	ds_read2_b64 v[16:19], v16 offset0:158 offset1:212
	s_and_saveexec_b64 s[2:3], vcc
	s_cbranch_execz .LBB0_27
; %bb.26:
	v_add_u32_e32 v0, 0xa00, v23
	ds_read_b64 v[24:25], v36 offset:1296
	ds_read2_b64 v[0:3], v0 offset0:22 offset1:202
.LBB0_27:
	s_or_b64 exec, exec, s[2:3]
	v_lshlrev_b32_e32 v26, 1, v22
	v_mov_b32_e32 v27, 0
	v_lshl_add_u64 v[34:35], v[26:27], 3, s[8:9]
	global_load_dwordx4 v[40:43], v[34:35], off offset:1416
	v_lshlrev_b32_e32 v34, 1, v38
	v_mov_b32_e32 v35, v27
	v_add_u32_e32 v26, 0xd8, v26
	v_lshl_add_u64 v[34:35], v[34:35], 3, s[8:9]
	global_load_dwordx4 v[44:47], v[34:35], off offset:1416
	v_lshl_add_u64 v[34:35], v[26:27], 3, s[8:9]
	global_load_dwordx4 v[48:51], v[34:35], off offset:1416
	v_lshl_add_u32 v26, v33, 3, v37
	s_mov_b32 s2, 0x3f5db3d7
	v_add_u32_e32 v30, 0x400, v26
	s_waitcnt lgkmcnt(0)
	s_barrier
	v_add_u32_e32 v26, 0x800, v26
	s_waitcnt vmcnt(2)
	v_pk_mul_f32 v[32:33], v[40:41], v[8:9] op_sel:[0,1]
	v_pk_mul_f32 v[34:35], v[42:43], v[14:15] op_sel:[0,1]
	v_pk_fma_f32 v[38:39], v[40:41], v[8:9], v[32:33] op_sel:[0,0,1] op_sel_hi:[1,1,0] neg_lo:[0,0,1] neg_hi:[0,0,1]
	v_pk_fma_f32 v[8:9], v[40:41], v[8:9], v[32:33] op_sel:[0,0,1] op_sel_hi:[1,0,0]
	v_pk_fma_f32 v[32:33], v[42:43], v[14:15], v[34:35] op_sel:[0,0,1] op_sel_hi:[1,1,0] neg_lo:[0,0,1] neg_hi:[0,0,1]
	v_pk_fma_f32 v[14:15], v[42:43], v[14:15], v[34:35] op_sel:[0,0,1] op_sel_hi:[1,0,0]
	s_waitcnt vmcnt(1)
	v_pk_mul_f32 v[34:35], v[44:45], v[10:11] op_sel:[0,1]
	v_pk_mul_f32 v[40:41], v[46:47], v[16:17] op_sel:[0,1]
	s_waitcnt vmcnt(0)
	v_pk_mul_f32 v[42:43], v[48:49], v[12:13] op_sel:[0,1]
	v_pk_mul_f32 v[52:53], v[50:51], v[18:19] op_sel:[0,1]
	v_mov_b32_e32 v39, v9
	v_mov_b32_e32 v33, v15
	v_pk_fma_f32 v[8:9], v[44:45], v[10:11], v[34:35] op_sel:[0,0,1] op_sel_hi:[1,1,0] neg_lo:[0,0,1] neg_hi:[0,0,1]
	v_pk_fma_f32 v[10:11], v[44:45], v[10:11], v[34:35] op_sel:[0,0,1] op_sel_hi:[1,0,0]
	v_pk_fma_f32 v[14:15], v[46:47], v[16:17], v[40:41] op_sel:[0,0,1] op_sel_hi:[1,1,0] neg_lo:[0,0,1] neg_hi:[0,0,1]
	v_pk_fma_f32 v[16:17], v[46:47], v[16:17], v[40:41] op_sel:[0,0,1] op_sel_hi:[1,0,0]
	;; [unrolled: 2-line block ×4, first 2 shown]
	v_pk_add_f32 v[42:43], v[28:29], v[38:39]
	v_mov_b32_e32 v9, v11
	v_mov_b32_e32 v15, v17
	;; [unrolled: 1-line block ×4, first 2 shown]
	v_pk_add_f32 v[10:11], v[38:39], v[32:33]
	v_pk_add_f32 v[12:13], v[38:39], v[32:33] neg_lo:[0,1] neg_hi:[0,1]
	v_pk_add_f32 v[16:17], v[42:43], v[32:33]
	v_pk_add_f32 v[18:19], v[4:5], v[8:9]
	v_pk_add_f32 v[32:33], v[6:7], v[34:35]
	v_pk_fma_f32 v[10:11], v[10:11], 0.5, v[28:29] op_sel_hi:[1,0,1] neg_lo:[1,0,0] neg_hi:[1,0,0]
	v_pk_mul_f32 v[12:13], v[12:13], s[2:3] op_sel_hi:[1,0]
	v_pk_add_f32 v[28:29], v[8:9], v[14:15]
	v_pk_add_f32 v[8:9], v[8:9], v[14:15] neg_lo:[0,1] neg_hi:[0,1]
	v_pk_add_f32 v[38:39], v[34:35], v[40:41]
	v_pk_add_f32 v[34:35], v[34:35], v[40:41] neg_lo:[0,1] neg_hi:[0,1]
	v_pk_add_f32 v[14:15], v[18:19], v[14:15]
	v_pk_add_f32 v[18:19], v[32:33], v[40:41]
	v_pk_add_f32 v[32:33], v[10:11], v[12:13] op_sel:[0,1] op_sel_hi:[1,0]
	v_pk_add_f32 v[10:11], v[10:11], v[12:13] op_sel:[0,1] op_sel_hi:[1,0] neg_lo:[0,1] neg_hi:[0,1]
	v_pk_fma_f32 v[4:5], v[28:29], 0.5, v[4:5] op_sel_hi:[1,0,1] neg_lo:[1,0,0] neg_hi:[1,0,0]
	v_pk_mul_f32 v[8:9], v[8:9], s[2:3] op_sel_hi:[1,0]
	v_pk_fma_f32 v[6:7], v[38:39], 0.5, v[6:7] op_sel_hi:[1,0,1] neg_lo:[1,0,0] neg_hi:[1,0,0]
	v_pk_mul_f32 v[12:13], v[34:35], s[2:3] op_sel_hi:[1,0]
	v_mov_b32_e32 v28, v32
	v_mov_b32_e32 v29, v11
	;; [unrolled: 1-line block ×3, first 2 shown]
	v_pk_add_f32 v[32:33], v[4:5], v[8:9] op_sel:[0,1] op_sel_hi:[1,0]
	v_pk_add_f32 v[4:5], v[4:5], v[8:9] op_sel:[0,1] op_sel_hi:[1,0] neg_lo:[0,1] neg_hi:[0,1]
	v_pk_add_f32 v[8:9], v[6:7], v[12:13] op_sel:[0,1] op_sel_hi:[1,0]
	v_pk_add_f32 v[6:7], v[6:7], v[12:13] op_sel:[0,1] op_sel_hi:[1,0] neg_lo:[0,1] neg_hi:[0,1]
	ds_write2_b64 v23, v[16:17], v[28:29] offset1:180
	ds_write_b64 v23, v[10:11] offset:2880
	v_mov_b32_e32 v10, v32
	v_mov_b32_e32 v11, v5
	;; [unrolled: 1-line block ×5, first 2 shown]
	ds_write2_b64 v36, v[14:15], v[18:19] offset0:54 offset1:108
	v_mov_b32_e32 v7, v9
	ds_write2_b64 v30, v[10:11], v[12:13] offset0:106 offset1:160
	ds_write2_b64 v26, v[4:5], v[6:7] offset0:158 offset1:212
	s_and_saveexec_b64 s[4:5], vcc
	s_cbranch_execz .LBB0_29
; %bb.28:
	v_not_b32_e32 v4, 17
	v_mov_b32_e32 v5, 0xa2
	v_cndmask_b32_e32 v4, v4, v5, vcc
	v_add_lshl_u32 v26, v22, v4, 1
	v_lshl_add_u64 v[4:5], v[26:27], 3, s[8:9]
	global_load_dwordx4 v[4:7], v[4:5], off offset:1416
	v_mov_b32_e32 v8, v1
	v_add_u32_e32 v14, 0x400, v23
	s_waitcnt vmcnt(0)
	v_pk_mul_f32 v[8:9], v[8:9], v[4:5] op_sel_hi:[0,1]
	v_pk_mul_f32 v[10:11], v[2:3], v[6:7] op_sel:[1,0]
	v_pk_fma_f32 v[12:13], v[0:1], v[4:5], v[8:9] op_sel:[0,0,1] op_sel_hi:[1,1,0] neg_lo:[0,0,1] neg_hi:[0,0,1]
	v_pk_fma_f32 v[0:1], v[0:1], v[4:5], v[8:9] op_sel:[0,0,1] op_sel_hi:[0,1,0]
	v_pk_fma_f32 v[4:5], v[2:3], v[6:7], v[10:11] op_sel:[0,0,1] op_sel_hi:[1,1,0] neg_lo:[0,0,1] neg_hi:[0,0,1]
	v_pk_fma_f32 v[2:3], v[2:3], v[6:7], v[10:11] op_sel:[0,0,1] op_sel_hi:[0,1,0]
	v_mov_b32_e32 v13, v1
	v_mov_b32_e32 v5, v3
	v_pk_add_f32 v[0:1], v[24:25], v[12:13]
	v_pk_add_f32 v[2:3], v[12:13], v[4:5]
	v_pk_add_f32 v[6:7], v[12:13], v[4:5] neg_lo:[0,1] neg_hi:[0,1]
	v_pk_add_f32 v[0:1], v[0:1], v[4:5]
	v_pk_fma_f32 v[2:3], -0.5, v[2:3], v[24:25] op_sel_hi:[0,1,1]
	v_pk_mul_f32 v[4:5], v[6:7], s[2:3] op_sel_hi:[1,0]
	s_nop 0
	v_pk_add_f32 v[6:7], v[2:3], v[4:5] op_sel:[0,1] op_sel_hi:[1,0]
	v_pk_add_f32 v[2:3], v[2:3], v[4:5] op_sel:[0,1] op_sel_hi:[1,0] neg_lo:[0,1] neg_hi:[0,1]
	v_mov_b32_e32 v4, v6
	v_mov_b32_e32 v5, v3
	;; [unrolled: 1-line block ×3, first 2 shown]
	ds_write2_b64 v14, v[0:1], v[4:5] offset0:34 offset1:214
	ds_write_b64 v23, v[2:3] offset:4176
.LBB0_29:
	s_or_b64 exec, exec, s[4:5]
	s_waitcnt lgkmcnt(0)
	s_barrier
	s_and_saveexec_b64 s[2:3], s[0:1]
	s_cbranch_execz .LBB0_31
; %bb.30:
	v_lshl_add_u32 v8, v22, 3, v31
	ds_read2_b64 v[0:3], v8 offset1:54
	v_mov_b32_e32 v23, 0
	v_add_u32_e32 v4, 54, v22
	v_lshl_add_u64 v[6:7], v[22:23], 3, v[20:21]
	v_mov_b32_e32 v5, v23
	s_waitcnt lgkmcnt(0)
	global_store_dwordx2 v[6:7], v[0:1], off
	v_lshl_add_u64 v[0:1], v[4:5], 3, v[20:21]
	ds_read2_b64 v[4:7], v8 offset0:108 offset1:162
	global_store_dwordx2 v[0:1], v[2:3], off
	v_add_u32_e32 v0, 0x6c, v22
	v_mov_b32_e32 v1, v23
	v_lshl_add_u64 v[0:1], v[0:1], 3, v[20:21]
	s_waitcnt lgkmcnt(0)
	global_store_dwordx2 v[0:1], v[4:5], off
	v_add_u32_e32 v0, 0xa2, v22
	v_mov_b32_e32 v1, v23
	v_lshl_add_u64 v[4:5], v[0:1], 3, v[20:21]
	v_add_u32_e32 v0, 0x400, v8
	ds_read2_b64 v[0:3], v0 offset0:88 offset1:142
	global_store_dwordx2 v[4:5], v[6:7], off
	v_add_u32_e32 v4, 0xd8, v22
	v_mov_b32_e32 v5, v23
	v_lshl_add_u64 v[4:5], v[4:5], 3, v[20:21]
	v_add_u32_e32 v8, 0x800, v8
	s_waitcnt lgkmcnt(0)
	global_store_dwordx2 v[4:5], v[0:1], off
	ds_read2_b64 v[4:7], v8 offset0:68 offset1:122
	v_add_u32_e32 v0, 0x10e, v22
	v_mov_b32_e32 v1, v23
	v_lshl_add_u64 v[0:1], v[0:1], 3, v[20:21]
	global_store_dwordx2 v[0:1], v[2:3], off
	v_add_u32_e32 v0, 0x144, v22
	v_mov_b32_e32 v1, v23
	v_lshl_add_u64 v[0:1], v[0:1], 3, v[20:21]
	s_waitcnt lgkmcnt(0)
	global_store_dwordx2 v[0:1], v[4:5], off
	v_add_u32_e32 v0, 0x17a, v22
	v_mov_b32_e32 v1, v23
	v_lshl_add_u64 v[4:5], v[0:1], 3, v[20:21]
	ds_read2_b64 v[0:3], v8 offset0:176 offset1:230
	global_store_dwordx2 v[4:5], v[6:7], off
	v_add_u32_e32 v4, 0x1b0, v22
	v_mov_b32_e32 v5, v23
	v_lshl_add_u64 v[4:5], v[4:5], 3, v[20:21]
	v_add_u32_e32 v22, 0x1e6, v22
	s_waitcnt lgkmcnt(0)
	global_store_dwordx2 v[4:5], v[0:1], off
	v_lshl_add_u64 v[0:1], v[22:23], 3, v[20:21]
	global_store_dwordx2 v[0:1], v[2:3], off
.LBB0_31:
	s_endpgm
	.section	.rodata,"a",@progbits
	.p2align	6, 0x0
	.amdhsa_kernel fft_rtc_fwd_len540_factors_3_10_6_3_wgs_216_tpt_54_halfLds_sp_ip_CI_unitstride_sbrr_C2R_dirReg
		.amdhsa_group_segment_fixed_size 0
		.amdhsa_private_segment_fixed_size 0
		.amdhsa_kernarg_size 88
		.amdhsa_user_sgpr_count 2
		.amdhsa_user_sgpr_dispatch_ptr 0
		.amdhsa_user_sgpr_queue_ptr 0
		.amdhsa_user_sgpr_kernarg_segment_ptr 1
		.amdhsa_user_sgpr_dispatch_id 0
		.amdhsa_user_sgpr_kernarg_preload_length 0
		.amdhsa_user_sgpr_kernarg_preload_offset 0
		.amdhsa_user_sgpr_private_segment_size 0
		.amdhsa_uses_dynamic_stack 0
		.amdhsa_enable_private_segment 0
		.amdhsa_system_sgpr_workgroup_id_x 1
		.amdhsa_system_sgpr_workgroup_id_y 0
		.amdhsa_system_sgpr_workgroup_id_z 0
		.amdhsa_system_sgpr_workgroup_info 0
		.amdhsa_system_vgpr_workitem_id 0
		.amdhsa_next_free_vgpr 67
		.amdhsa_next_free_sgpr 22
		.amdhsa_accum_offset 68
		.amdhsa_reserve_vcc 1
		.amdhsa_float_round_mode_32 0
		.amdhsa_float_round_mode_16_64 0
		.amdhsa_float_denorm_mode_32 3
		.amdhsa_float_denorm_mode_16_64 3
		.amdhsa_dx10_clamp 1
		.amdhsa_ieee_mode 1
		.amdhsa_fp16_overflow 0
		.amdhsa_tg_split 0
		.amdhsa_exception_fp_ieee_invalid_op 0
		.amdhsa_exception_fp_denorm_src 0
		.amdhsa_exception_fp_ieee_div_zero 0
		.amdhsa_exception_fp_ieee_overflow 0
		.amdhsa_exception_fp_ieee_underflow 0
		.amdhsa_exception_fp_ieee_inexact 0
		.amdhsa_exception_int_div_zero 0
	.end_amdhsa_kernel
	.text
.Lfunc_end0:
	.size	fft_rtc_fwd_len540_factors_3_10_6_3_wgs_216_tpt_54_halfLds_sp_ip_CI_unitstride_sbrr_C2R_dirReg, .Lfunc_end0-fft_rtc_fwd_len540_factors_3_10_6_3_wgs_216_tpt_54_halfLds_sp_ip_CI_unitstride_sbrr_C2R_dirReg
                                        ; -- End function
	.section	.AMDGPU.csdata,"",@progbits
; Kernel info:
; codeLenInByte = 6700
; NumSgprs: 28
; NumVgprs: 67
; NumAgprs: 0
; TotalNumVgprs: 67
; ScratchSize: 0
; MemoryBound: 0
; FloatMode: 240
; IeeeMode: 1
; LDSByteSize: 0 bytes/workgroup (compile time only)
; SGPRBlocks: 3
; VGPRBlocks: 8
; NumSGPRsForWavesPerEU: 28
; NumVGPRsForWavesPerEU: 67
; AccumOffset: 68
; Occupancy: 7
; WaveLimiterHint : 1
; COMPUTE_PGM_RSRC2:SCRATCH_EN: 0
; COMPUTE_PGM_RSRC2:USER_SGPR: 2
; COMPUTE_PGM_RSRC2:TRAP_HANDLER: 0
; COMPUTE_PGM_RSRC2:TGID_X_EN: 1
; COMPUTE_PGM_RSRC2:TGID_Y_EN: 0
; COMPUTE_PGM_RSRC2:TGID_Z_EN: 0
; COMPUTE_PGM_RSRC2:TIDIG_COMP_CNT: 0
; COMPUTE_PGM_RSRC3_GFX90A:ACCUM_OFFSET: 16
; COMPUTE_PGM_RSRC3_GFX90A:TG_SPLIT: 0
	.text
	.p2alignl 6, 3212836864
	.fill 256, 4, 3212836864
	.type	__hip_cuid_7b5207a8f44dbd8d,@object ; @__hip_cuid_7b5207a8f44dbd8d
	.section	.bss,"aw",@nobits
	.globl	__hip_cuid_7b5207a8f44dbd8d
__hip_cuid_7b5207a8f44dbd8d:
	.byte	0                               ; 0x0
	.size	__hip_cuid_7b5207a8f44dbd8d, 1

	.ident	"AMD clang version 19.0.0git (https://github.com/RadeonOpenCompute/llvm-project roc-6.4.0 25133 c7fe45cf4b819c5991fe208aaa96edf142730f1d)"
	.section	".note.GNU-stack","",@progbits
	.addrsig
	.addrsig_sym __hip_cuid_7b5207a8f44dbd8d
	.amdgpu_metadata
---
amdhsa.kernels:
  - .agpr_count:     0
    .args:
      - .actual_access:  read_only
        .address_space:  global
        .offset:         0
        .size:           8
        .value_kind:     global_buffer
      - .offset:         8
        .size:           8
        .value_kind:     by_value
      - .actual_access:  read_only
        .address_space:  global
        .offset:         16
        .size:           8
        .value_kind:     global_buffer
      - .actual_access:  read_only
        .address_space:  global
        .offset:         24
        .size:           8
        .value_kind:     global_buffer
      - .offset:         32
        .size:           8
        .value_kind:     by_value
      - .actual_access:  read_only
        .address_space:  global
        .offset:         40
        .size:           8
        .value_kind:     global_buffer
      - .actual_access:  read_only
        .address_space:  global
        .offset:         48
        .size:           8
        .value_kind:     global_buffer
      - .offset:         56
        .size:           4
        .value_kind:     by_value
      - .actual_access:  read_only
        .address_space:  global
        .offset:         64
        .size:           8
        .value_kind:     global_buffer
      - .actual_access:  read_only
        .address_space:  global
        .offset:         72
        .size:           8
        .value_kind:     global_buffer
      - .address_space:  global
        .offset:         80
        .size:           8
        .value_kind:     global_buffer
    .group_segment_fixed_size: 0
    .kernarg_segment_align: 8
    .kernarg_segment_size: 88
    .language:       OpenCL C
    .language_version:
      - 2
      - 0
    .max_flat_workgroup_size: 216
    .name:           fft_rtc_fwd_len540_factors_3_10_6_3_wgs_216_tpt_54_halfLds_sp_ip_CI_unitstride_sbrr_C2R_dirReg
    .private_segment_fixed_size: 0
    .sgpr_count:     28
    .sgpr_spill_count: 0
    .symbol:         fft_rtc_fwd_len540_factors_3_10_6_3_wgs_216_tpt_54_halfLds_sp_ip_CI_unitstride_sbrr_C2R_dirReg.kd
    .uniform_work_group_size: 1
    .uses_dynamic_stack: false
    .vgpr_count:     67
    .vgpr_spill_count: 0
    .wavefront_size: 64
amdhsa.target:   amdgcn-amd-amdhsa--gfx950
amdhsa.version:
  - 1
  - 2
...

	.end_amdgpu_metadata
